;; amdgpu-corpus repo=zjin-lcf/HeCBench kind=compiled arch=gfx950 opt=O3
	.amdgcn_target "amdgcn-amd-amdhsa--gfx950"
	.amdhsa_code_object_version 6
	.text
	.protected	_Z12crc64_kernelPmS_PKhPKmS3_mi ; -- Begin function _Z12crc64_kernelPmS_PKhPKmS3_mi
	.globl	_Z12crc64_kernelPmS_PKhPKmS3_mi
	.p2align	8
	.type	_Z12crc64_kernelPmS_PKhPKmS3_mi,@function
_Z12crc64_kernelPmS_PKhPKmS3_mi:        ; @_Z12crc64_kernelPmS_PKhPKmS3_mi
; %bb.0:
	s_load_dword s16, s[0:1], 0x30
	s_load_dwordx4 s[12:15], s[0:1], 0x20
	s_load_dwordx8 s[4:11], s[0:1], 0x0
	s_waitcnt lgkmcnt(0)
	s_ashr_i32 s17, s16, 31
	s_or_b64 s[18:19], s[14:15], s[16:17]
	s_mov_b32 s18, 0
	s_cmp_lg_u64 s[18:19], 0
	s_cbranch_scc0 .LBB0_20
; %bb.1:
	v_cvt_f32_u32_e32 v1, s16
	v_cvt_f32_u32_e32 v2, s17
	s_sub_u32 s3, 0, s16
	s_subb_u32 s22, 0, s17
	v_fmamk_f32 v1, v2, 0x4f800000, v1
	v_rcp_f32_e32 v1, v1
	s_nop 0
	v_mul_f32_e32 v1, 0x5f7ffffc, v1
	v_mul_f32_e32 v2, 0x2f800000, v1
	v_trunc_f32_e32 v2, v2
	v_fmamk_f32 v1, v2, 0xcf800000, v1
	v_cvt_u32_f32_e32 v2, v2
	v_cvt_u32_f32_e32 v1, v1
	v_readfirstlane_b32 s23, v2
	v_readfirstlane_b32 s20, v1
	s_mul_i32 s21, s3, s23
	s_mul_hi_u32 s25, s3, s20
	s_mul_i32 s24, s22, s20
	s_add_i32 s21, s25, s21
	s_add_i32 s21, s21, s24
	s_mul_i32 s26, s3, s20
	s_mul_i32 s25, s20, s21
	s_mul_hi_u32 s27, s20, s26
	s_mul_hi_u32 s24, s20, s21
	s_add_u32 s25, s27, s25
	s_addc_u32 s24, 0, s24
	s_mul_hi_u32 s28, s23, s26
	s_mul_i32 s26, s23, s26
	s_add_u32 s25, s25, s26
	s_mul_hi_u32 s27, s23, s21
	s_addc_u32 s24, s24, s28
	s_addc_u32 s25, s27, 0
	s_mul_i32 s21, s23, s21
	s_add_u32 s21, s24, s21
	s_addc_u32 s24, 0, s25
	s_add_u32 s25, s20, s21
	s_cselect_b64 s[20:21], -1, 0
	s_cmp_lg_u64 s[20:21], 0
	s_addc_u32 s23, s23, s24
	s_mul_i32 s20, s3, s23
	s_mul_hi_u32 s21, s3, s25
	s_add_i32 s20, s21, s20
	s_mul_i32 s22, s22, s25
	s_add_i32 s20, s20, s22
	s_mul_i32 s3, s3, s25
	s_mul_hi_u32 s22, s23, s3
	s_mul_i32 s24, s23, s3
	s_mul_i32 s27, s25, s20
	s_mul_hi_u32 s3, s25, s3
	s_mul_hi_u32 s26, s25, s20
	s_add_u32 s3, s3, s27
	s_addc_u32 s26, 0, s26
	s_add_u32 s3, s3, s24
	s_mul_hi_u32 s21, s23, s20
	s_addc_u32 s3, s26, s22
	s_addc_u32 s21, s21, 0
	s_mul_i32 s20, s23, s20
	s_add_u32 s3, s3, s20
	s_addc_u32 s22, 0, s21
	s_add_u32 s3, s25, s3
	s_cselect_b64 s[20:21], -1, 0
	s_cmp_lg_u64 s[20:21], 0
	s_addc_u32 s20, s23, s22
	s_mul_i32 s22, s14, s20
	s_mul_hi_u32 s23, s14, s3
	s_mul_hi_u32 s21, s14, s20
	s_add_u32 s22, s23, s22
	s_addc_u32 s21, 0, s21
	s_mul_hi_u32 s24, s15, s3
	s_mul_i32 s3, s15, s3
	s_add_u32 s3, s22, s3
	s_mul_hi_u32 s23, s15, s20
	s_addc_u32 s3, s21, s24
	s_addc_u32 s21, s23, 0
	s_mul_i32 s20, s15, s20
	s_add_u32 s3, s3, s20
	s_addc_u32 s24, 0, s21
	s_mul_i32 s20, s16, s24
	s_mul_hi_u32 s21, s16, s3
	s_add_i32 s20, s21, s20
	s_mul_i32 s21, s17, s3
	s_add_i32 s25, s20, s21
	s_sub_i32 s22, s15, s25
	s_mul_i32 s20, s16, s3
	s_sub_u32 s26, s14, s20
	s_cselect_b64 s[20:21], -1, 0
	s_cmp_lg_u64 s[20:21], 0
	s_subb_u32 s27, s22, s17
	s_sub_u32 s28, s26, s16
	s_cselect_b64 s[22:23], -1, 0
	s_cmp_lg_u64 s[22:23], 0
	s_subb_u32 s22, s27, 0
	s_cmp_ge_u32 s22, s17
	s_cselect_b32 s23, -1, 0
	s_cmp_ge_u32 s28, s16
	s_cselect_b32 s27, -1, 0
	s_cmp_eq_u32 s22, s17
	s_cselect_b32 s22, s27, s23
	s_add_u32 s23, s3, 1
	s_addc_u32 s27, s24, 0
	s_add_u32 s28, s3, 2
	s_addc_u32 s29, s24, 0
	s_cmp_lg_u32 s22, 0
	s_cselect_b32 s22, s28, s23
	s_cselect_b32 s23, s29, s27
	s_cmp_lg_u64 s[20:21], 0
	s_subb_u32 s20, s15, s25
	s_cmp_ge_u32 s20, s17
	s_cselect_b32 s21, -1, 0
	s_cmp_ge_u32 s26, s16
	s_cselect_b32 s25, -1, 0
	s_cmp_eq_u32 s20, s17
	s_cselect_b32 s17, s25, s21
	s_cmp_lg_u32 s17, 0
	s_cselect_b32 s21, s23, s24
	s_cselect_b32 s20, s22, s3
	s_load_dword s0, s[0:1], 0x44
	s_cbranch_execnz .LBB0_3
.LBB0_2:
	v_cvt_f32_u32_e32 v1, s16
	s_sub_i32 s1, 0, s16
	s_mov_b32 s21, 0
	v_rcp_iflag_f32_e32 v1, v1
	s_nop 0
	v_mul_f32_e32 v1, 0x4f7ffffe, v1
	v_cvt_u32_f32_e32 v1, v1
	s_nop 0
	v_readfirstlane_b32 s3, v1
	s_mul_i32 s1, s1, s3
	s_mul_hi_u32 s1, s3, s1
	s_add_i32 s3, s3, s1
	s_mul_hi_u32 s1, s14, s3
	s_mul_i32 s17, s1, s16
	s_sub_i32 s17, s14, s17
	s_add_i32 s3, s1, 1
	s_sub_i32 s18, s17, s16
	s_cmp_ge_u32 s17, s16
	s_cselect_b32 s1, s3, s1
	s_cselect_b32 s17, s18, s17
	s_add_i32 s3, s1, 1
	s_cmp_ge_u32 s17, s16
	s_cselect_b32 s20, s3, s1
.LBB0_3:
	s_waitcnt lgkmcnt(0)
	s_and_b32 s0, 0xffff, s0
	s_mul_i32 s2, s2, s0
	v_add_u32_e32 v4, s2, v0
	v_mov_b64_e32 v[0:1], s[8:9]
	v_mad_u64_u32 v[8:9], s[0:1], s20, v4, v[0:1]
	v_ashrrev_i32_e32 v5, 31, v4
	s_add_i32 s0, s16, -1
	v_mul_lo_u32 v6, s20, v5
	v_mul_lo_u32 v0, s21, v4
	s_add_u32 s1, s8, s14
	v_add3_u32 v9, v0, v9, v6
	s_addc_u32 s2, s9, s15
	v_lshl_add_u64 v[0:1], v[8:9], 0, s[20:21]
	v_mov_b32_e32 v6, s2
	v_cmp_eq_u32_e32 vcc, s0, v4
	v_mov_b32_e32 v2, s4
	v_mov_b32_e32 v3, s5
	v_cndmask_b32_e32 v13, v1, v6, vcc
	v_mov_b32_e32 v1, s1
	v_cndmask_b32_e32 v12, v0, v1, vcc
	v_sub_co_u32_e32 v0, vcc, v12, v8
	v_lshl_add_u64 v[2:3], v[4:5], 3, v[2:3]
	s_nop 0
	v_subb_co_u32_e32 v1, vcc, v13, v9, vcc
	v_lshl_add_u64 v[6:7], v[8:9], 0, v[0:1]
	v_cmp_ne_u64_e32 vcc, v[12:13], v[8:9]
	v_mov_b64_e32 v[16:17], -1
	global_store_dwordx2 v[2:3], v[0:1], off
	s_and_saveexec_b64 s[2:3], vcc
	s_cbranch_execz .LBB0_9
; %bb.4:
	v_mov_b64_e32 v[16:17], -1
	s_mov_b64 s[4:5], 0
	v_mov_b32_e32 v1, 0
	v_mov_b32_e32 v2, 3
                                        ; implicit-def: $sgpr8_sgpr9
	s_branch .LBB0_6
.LBB0_5:                                ;   in Loop: Header=BB0_6 Depth=1
	s_or_b64 exec, exec, s[0:1]
	s_and_b64 s[0:1], exec, s[8:9]
	s_or_b64 s[4:5], s[0:1], s[4:5]
	s_andn2_b64 exec, exec, s[4:5]
	s_cbranch_execz .LBB0_8
.LBB0_6:                                ; =>This Inner Loop Header: Depth=1
	v_sub_co_u32_e64 v10, s[0:1], v12, v8
	v_and_b32_e32 v0, 3, v8
	s_nop 0
	v_subb_co_u32_e64 v11, s[0:1], v13, v9, s[0:1]
	v_cmp_ne_u64_e32 vcc, 0, v[0:1]
	v_cmp_gt_i64_e64 s[0:1], 20, v[10:11]
	s_or_b64 s[14:15], vcc, s[0:1]
	s_or_b64 s[8:9], s[8:9], exec
	s_and_saveexec_b64 s[0:1], s[14:15]
	s_cbranch_execz .LBB0_5
; %bb.7:                                ;   in Loop: Header=BB0_6 Depth=1
	global_load_ubyte v0, v[8:9], off
	v_lshl_add_u64 v[8:9], v[8:9], 0, 1
	v_lshrrev_b64 v[14:15], 8, v[16:17]
	s_andn2_b64 s[8:9], s[8:9], exec
	s_waitcnt vmcnt(0)
	v_xor_b32_e32 v0, v0, v16
	v_lshlrev_b32_sdwa v0, v2, v0 dst_sel:DWORD dst_unused:UNUSED_PAD src0_sel:DWORD src1_sel:BYTE_0
	v_lshl_add_u64 v[10:11], s[10:11], 0, v[0:1]
	v_add_co_u32_e32 v10, vcc, 0x1000, v10
	s_nop 1
	v_addc_co_u32_e32 v11, vcc, 0, v11, vcc
	global_load_dwordx2 v[10:11], v[10:11], off offset:2048
	v_cmp_ge_u64_e32 vcc, v[8:9], v[6:7]
	s_and_b64 s[14:15], vcc, exec
	s_or_b64 s[8:9], s[8:9], s[14:15]
	s_waitcnt vmcnt(0)
	v_xor_b32_e32 v17, v11, v15
	v_xor_b32_e32 v16, v10, v14
	s_branch .LBB0_5
.LBB0_8:
	s_or_b64 exec, exec, s[4:5]
.LBB0_9:
	s_or_b64 exec, exec, s[2:3]
	v_cmp_ne_u64_e32 vcc, v[8:9], v[6:7]
	s_and_saveexec_b64 s[0:1], vcc
	s_cbranch_execz .LBB0_19
; %bb.10:
	global_load_dword v24, v[8:9], off offset:16
	global_load_dwordx4 v[0:3], v[8:9], off
	v_lshl_add_u64 v[8:9], v[8:9], 0, 20
	v_sub_co_u32_e32 v10, vcc, v12, v8
	v_mov_b64_e32 v[14:15], 0
	s_nop 0
	v_subb_co_u32_e32 v11, vcc, v13, v9, vcc
	v_cmp_lt_i64_e32 vcc, 19, v[10:11]
	v_mov_b64_e32 v[10:11], 0
	v_mov_b64_e32 v[18:19], 0
	;; [unrolled: 1-line block ×4, first 2 shown]
	s_and_saveexec_b64 s[2:3], vcc
	s_cbranch_execz .LBB0_14
; %bb.11:
	v_mov_b64_e32 v[14:15], 0
	s_mov_b64 s[4:5], 0
	v_mov_b64_e32 v[10:11], 0
	v_mov_b64_e32 v[18:19], 0
	;; [unrolled: 1-line block ×4, first 2 shown]
	s_movk_i32 s8, 0xff
	v_mov_b32_e32 v15, 0
	s_movk_i32 s9, 0x1000
	v_mov_b32_e32 v25, 3
.LBB0_12:                               ; =>This Inner Loop Header: Depth=1
	v_xor_b32_e32 v14, v16, v14
	v_xor_b32_e32 v16, v17, v22
	;; [unrolled: 1-line block ×5, first 2 shown]
	s_waitcnt vmcnt(0)
	v_xor_b32_e32 v44, v0, v14
	v_bitop3_b32 v0, v0, s8, v14 bitop3:0x48
	v_xor_b32_e32 v48, v1, v16
	v_bitop3_b32 v1, v1, s8, v16 bitop3:0x48
	;; [unrolled: 2-line block ×5, first 2 shown]
	v_lshlrev_b32_e32 v0, 3, v0
	v_lshlrev_b32_e32 v1, 3, v1
	v_lshlrev_b32_sdwa v14, v25, v44 dst_sel:DWORD dst_unused:UNUSED_PAD src0_sel:DWORD src1_sel:BYTE_2
	global_load_dword v24, v[8:9], off offset:16
	v_lshlrev_b32_e32 v2, 3, v2
	v_lshlrev_b32_e32 v3, 3, v3
	;; [unrolled: 1-line block ×3, first 2 shown]
	v_lshlrev_b32_sdwa v38, v25, v44 dst_sel:DWORD dst_unused:UNUSED_PAD src0_sel:DWORD src1_sel:BYTE_1
	v_lshlrev_b32_sdwa v39, v25, v48 dst_sel:DWORD dst_unused:UNUSED_PAD src0_sel:DWORD src1_sel:BYTE_1
	v_lshlrev_b32_sdwa v40, v25, v49 dst_sel:DWORD dst_unused:UNUSED_PAD src0_sel:DWORD src1_sel:BYTE_1
	v_lshlrev_b32_sdwa v41, v25, v52 dst_sel:DWORD dst_unused:UNUSED_PAD src0_sel:DWORD src1_sel:BYTE_1
	v_lshlrev_b32_sdwa v42, v25, v53 dst_sel:DWORD dst_unused:UNUSED_PAD src0_sel:DWORD src1_sel:BYTE_1
	global_load_dwordx2 v[22:23], v0, s[12:13]
	global_load_dwordx2 v[26:27], v1, s[12:13]
	;; [unrolled: 1-line block ×5, first 2 shown]
	global_load_dwordx2 v[28:29], v38, s[12:13] offset:2048
	global_load_dwordx2 v[30:31], v39, s[12:13] offset:2048
	;; [unrolled: 1-line block ×5, first 2 shown]
	v_lshl_add_u64 v[0:1], s[12:13], 0, v[14:15]
	v_lshlrev_b32_sdwa v14, v25, v48 dst_sel:DWORD dst_unused:UNUSED_PAD src0_sel:DWORD src1_sel:BYTE_2
	v_add_co_u32_e32 v0, vcc, s9, v0
	v_lshl_add_u64 v[2:3], s[12:13], 0, v[14:15]
	s_nop 0
	v_addc_co_u32_e32 v1, vcc, 0, v1, vcc
	v_lshlrev_b32_sdwa v14, v25, v49 dst_sel:DWORD dst_unused:UNUSED_PAD src0_sel:DWORD src1_sel:BYTE_2
	v_add_co_u32_e32 v2, vcc, s9, v2
	v_lshl_add_u64 v[38:39], s[12:13], 0, v[14:15]
	s_nop 0
	v_addc_co_u32_e32 v3, vcc, 0, v3, vcc
	v_lshlrev_b32_sdwa v14, v25, v52 dst_sel:DWORD dst_unused:UNUSED_PAD src0_sel:DWORD src1_sel:BYTE_2
	global_load_dwordx2 v[40:41], v[0:1], off
	global_load_dwordx2 v[42:43], v[2:3], off
	v_add_co_u32_e32 v0, vcc, s9, v38
	v_lshl_add_u64 v[2:3], s[12:13], 0, v[14:15]
	s_nop 0
	v_addc_co_u32_e32 v1, vcc, 0, v39, vcc
	v_lshlrev_b32_sdwa v14, v25, v53 dst_sel:DWORD dst_unused:UNUSED_PAD src0_sel:DWORD src1_sel:BYTE_2
	v_add_co_u32_e32 v2, vcc, s9, v2
	v_lshl_add_u64 v[38:39], s[12:13], 0, v[14:15]
	s_nop 0
	v_addc_co_u32_e32 v3, vcc, 0, v3, vcc
	v_lshlrev_b32_sdwa v14, v25, v44 dst_sel:DWORD dst_unused:UNUSED_PAD src0_sel:DWORD src1_sel:BYTE_3
	global_load_dwordx2 v[44:45], v[0:1], off
	global_load_dwordx2 v[46:47], v[2:3], off
	v_add_co_u32_e32 v0, vcc, s9, v38
	v_lshl_add_u64 v[2:3], s[12:13], 0, v[14:15]
	s_nop 0
	v_addc_co_u32_e32 v1, vcc, 0, v39, vcc
	v_lshlrev_b32_sdwa v14, v25, v48 dst_sel:DWORD dst_unused:UNUSED_PAD src0_sel:DWORD src1_sel:BYTE_3
	v_add_co_u32_e32 v2, vcc, s9, v2
	v_lshl_add_u64 v[38:39], s[12:13], 0, v[14:15]
	s_nop 0
	v_addc_co_u32_e32 v3, vcc, 0, v3, vcc
	v_lshlrev_b32_sdwa v14, v25, v49 dst_sel:DWORD dst_unused:UNUSED_PAD src0_sel:DWORD src1_sel:BYTE_3
	global_load_dwordx2 v[48:49], v[0:1], off
	global_load_dwordx2 v[50:51], v[2:3], off offset:2048
	v_add_co_u32_e32 v0, vcc, s9, v38
	v_lshl_add_u64 v[2:3], s[12:13], 0, v[14:15]
	s_nop 0
	v_addc_co_u32_e32 v1, vcc, 0, v39, vcc
	v_lshlrev_b32_sdwa v14, v25, v52 dst_sel:DWORD dst_unused:UNUSED_PAD src0_sel:DWORD src1_sel:BYTE_3
	global_load_dwordx2 v[38:39], v[0:1], off offset:2048
	v_add_co_u32_e32 v0, vcc, s9, v2
	s_waitcnt vmcnt(9)
	v_xor_b32_e32 v21, v33, v21
	v_addc_co_u32_e32 v1, vcc, 0, v3, vcc
	v_lshl_add_u64 v[2:3], s[12:13], 0, v[14:15]
	v_lshlrev_b32_sdwa v14, v25, v53 dst_sel:DWORD dst_unused:UNUSED_PAD src0_sel:DWORD src1_sel:BYTE_3
	v_add_co_u32_e32 v2, vcc, s9, v2
	v_lshl_add_u64 v[52:53], s[12:13], 0, v[14:15]
	s_nop 0
	v_addc_co_u32_e32 v3, vcc, 0, v3, vcc
	v_add_co_u32_e32 v52, vcc, s9, v52
	global_load_dwordx2 v[54:55], v[0:1], off offset:2048
	global_load_dwordx2 v[56:57], v[2:3], off offset:2048
	v_addc_co_u32_e32 v53, vcc, 0, v53, vcc
	global_load_dwordx2 v[58:59], v[52:53], off offset:2048
	global_load_dwordx4 v[0:3], v[8:9], off
	v_lshl_add_u64 v[8:9], v[8:9], 0, 20
	v_sub_co_u32_e32 v10, vcc, v12, v8
	v_mov_b32_e32 v14, v11
	s_nop 0
	v_subb_co_u32_e32 v11, vcc, v13, v9, vcc
	v_cmp_gt_i64_e32 vcc, 20, v[10:11]
	v_xor_b32_e32 v10, v29, v23
	v_xor_b32_e32 v11, v28, v22
	;; [unrolled: 1-line block ×5, first 2 shown]
	s_waitcnt vmcnt(12)
	v_xor_b32_e32 v19, v35, v19
	v_xor_b32_e32 v18, v34, v18
	s_waitcnt vmcnt(11)
	v_xor_b32_e32 v17, v37, v17
	v_xor_b32_e32 v16, v36, v16
	;; [unrolled: 3-line block ×6, first 2 shown]
	s_or_b64 s[4:5], vcc, s[4:5]
	s_waitcnt vmcnt(6)
	v_xor_b32_e32 v27, v17, v49
	v_xor_b32_e32 v28, v16, v48
	s_waitcnt vmcnt(5)
	v_xor_b32_e32 v17, v10, v51
	v_xor_b32_e32 v16, v11, v50
	;; [unrolled: 3-line block ×6, first 2 shown]
	s_andn2_b64 exec, exec, s[4:5]
	s_cbranch_execnz .LBB0_12
; %bb.13:
	s_or_b64 exec, exec, s[4:5]
.LBB0_14:
	s_or_b64 exec, exec, s[2:3]
	v_xor_b32_e32 v12, v14, v16
	s_movk_i32 s2, 0xff
	s_waitcnt vmcnt(0)
	v_xor_b32_e32 v16, v0, v12
	v_bitop3_b32 v0, v0, s2, v12 bitop3:0x48
	v_lshlrev_b32_e32 v25, 3, v0
	v_mov_b32_e32 v0, 3
	v_mov_b32_e32 v13, 0
	v_lshlrev_b32_sdwa v12, v0, v16 dst_sel:DWORD dst_unused:UNUSED_PAD src0_sel:DWORD src1_sel:BYTE_2
	v_lshl_add_u64 v[14:15], s[10:11], 0, v[12:13]
	v_add_co_u32_e32 v14, vcc, 0x1000, v14
	v_lshlrev_b32_sdwa v12, v0, v16 dst_sel:DWORD dst_unused:UNUSED_PAD src0_sel:DWORD src1_sel:BYTE_3
	s_nop 0
	v_addc_co_u32_e32 v15, vcc, 0, v15, vcc
	v_lshl_add_u64 v[26:27], s[10:11], 0, v[12:13]
	v_add_co_u32_e32 v26, vcc, 0x1000, v26
	v_lshlrev_b32_sdwa v36, v0, v16 dst_sel:DWORD dst_unused:UNUSED_PAD src0_sel:DWORD src1_sel:BYTE_1
	s_nop 0
	v_addc_co_u32_e32 v27, vcc, 0, v27, vcc
	global_load_dwordx2 v[28:29], v25, s[10:11]
	global_load_dwordx2 v[30:31], v36, s[10:11] offset:2048
	global_load_dwordx2 v[32:33], v[14:15], off
	global_load_dwordx2 v[34:35], v[26:27], off offset:2048
	v_xor_b32_e32 v12, v17, v22
	s_movk_i32 s3, 0x1000
	s_waitcnt vmcnt(3)
	v_xor_b32_e32 v12, v12, v28
	s_waitcnt vmcnt(2)
	v_xor_b32_e32 v12, v12, v30
	s_waitcnt vmcnt(1)
	v_xor_b32_e32 v12, v12, v32
	s_waitcnt vmcnt(0)
	v_xor_b32_e32 v12, v12, v34
	v_xor_b32_e32 v22, v1, v12
	v_bitop3_b32 v1, v1, s2, v12 bitop3:0x48
	v_lshlrev_b32_sdwa v12, v0, v22 dst_sel:DWORD dst_unused:UNUSED_PAD src0_sel:DWORD src1_sel:BYTE_2
	v_lshlrev_b32_e32 v1, 3, v1
	v_lshl_add_u64 v[26:27], s[10:11], 0, v[12:13]
	v_lshlrev_b32_sdwa v25, v0, v22 dst_sel:DWORD dst_unused:UNUSED_PAD src0_sel:DWORD src1_sel:BYTE_1
	global_load_dwordx2 v[14:15], v1, s[10:11]
	global_load_dwordx2 v[16:17], v25, s[10:11] offset:2048
	v_lshlrev_b32_sdwa v12, v0, v22 dst_sel:DWORD dst_unused:UNUSED_PAD src0_sel:DWORD src1_sel:BYTE_3
	v_add_co_u32_e32 v26, vcc, s3, v26
	v_lshl_add_u64 v[36:37], s[10:11], 0, v[12:13]
	s_nop 0
	v_addc_co_u32_e32 v27, vcc, 0, v27, vcc
	v_add_co_u32_e32 v36, vcc, s3, v36
	v_xor_b32_e32 v1, v23, v29
	s_nop 0
	v_addc_co_u32_e32 v37, vcc, 0, v37, vcc
	global_load_dwordx2 v[38:39], v[26:27], off
	global_load_dwordx2 v[40:41], v[36:37], off offset:2048
	v_xor_b32_e32 v1, v1, v31
	v_xor_b32_e32 v1, v1, v33
	v_xor_b32_e32 v1, v1, v35
	s_waitcnt vmcnt(3)
	v_xor_b32_e32 v12, v14, v20
	s_waitcnt vmcnt(2)
	v_xor_b32_e32 v12, v12, v16
	v_xor_b32_e32 v1, v12, v1
	s_waitcnt vmcnt(1)
	v_xor_b32_e32 v1, v1, v38
	s_waitcnt vmcnt(0)
	v_xor_b32_e32 v1, v1, v40
	v_xor_b32_e32 v14, v2, v1
	v_lshlrev_b32_sdwa v12, v0, v14 dst_sel:DWORD dst_unused:UNUSED_PAD src0_sel:DWORD src1_sel:BYTE_2
	v_lshl_add_u64 v[22:23], s[10:11], 0, v[12:13]
	v_lshlrev_b32_sdwa v12, v0, v14 dst_sel:DWORD dst_unused:UNUSED_PAD src0_sel:DWORD src1_sel:BYTE_3
	v_add_co_u32_e32 v22, vcc, s3, v22
	v_bitop3_b32 v1, v2, s2, v1 bitop3:0x48
	s_nop 0
	v_addc_co_u32_e32 v23, vcc, 0, v23, vcc
	v_lshl_add_u64 v[26:27], s[10:11], 0, v[12:13]
	v_lshlrev_b32_e32 v1, 3, v1
	v_add_co_u32_e32 v26, vcc, s3, v26
	v_lshlrev_b32_sdwa v2, v0, v14 dst_sel:DWORD dst_unused:UNUSED_PAD src0_sel:DWORD src1_sel:BYTE_1
	s_nop 0
	v_addc_co_u32_e32 v27, vcc, 0, v27, vcc
	global_load_dwordx2 v[28:29], v1, s[10:11]
	global_load_dwordx2 v[30:31], v2, s[10:11] offset:2048
	global_load_dwordx2 v[32:33], v[22:23], off
	global_load_dwordx2 v[34:35], v[26:27], off offset:2048
	v_xor_b32_e32 v1, v15, v21
	v_xor_b32_e32 v1, v1, v17
	;; [unrolled: 1-line block ×4, first 2 shown]
	s_waitcnt vmcnt(3)
	v_xor_b32_e32 v2, v28, v18
	s_waitcnt vmcnt(2)
	v_xor_b32_e32 v2, v2, v30
	;; [unrolled: 2-line block ×4, first 2 shown]
	v_xor_b32_e32 v1, v2, v1
	v_xor_b32_e32 v14, v3, v1
	v_lshlrev_b32_sdwa v12, v0, v14 dst_sel:DWORD dst_unused:UNUSED_PAD src0_sel:DWORD src1_sel:BYTE_2
	v_bitop3_b32 v1, v3, s2, v1 bitop3:0x48
	v_lshl_add_u64 v[2:3], s[10:11], 0, v[12:13]
	v_lshlrev_b32_sdwa v12, v0, v14 dst_sel:DWORD dst_unused:UNUSED_PAD src0_sel:DWORD src1_sel:BYTE_3
	v_add_co_u32_e32 v2, vcc, s3, v2
	v_lshlrev_b32_sdwa v18, v0, v14 dst_sel:DWORD dst_unused:UNUSED_PAD src0_sel:DWORD src1_sel:BYTE_1
	s_nop 0
	v_addc_co_u32_e32 v3, vcc, 0, v3, vcc
	v_lshl_add_u64 v[14:15], s[10:11], 0, v[12:13]
	v_lshlrev_b32_e32 v1, 3, v1
	v_add_co_u32_e32 v14, vcc, s3, v14
	s_nop 1
	v_addc_co_u32_e32 v15, vcc, 0, v15, vcc
	global_load_dwordx2 v[16:17], v1, s[10:11]
	global_load_dwordx2 v[20:21], v18, s[10:11] offset:2048
	global_load_dwordx2 v[22:23], v[2:3], off
	global_load_dwordx2 v[26:27], v[14:15], off offset:2048
	v_xor_b32_e32 v1, v29, v19
	v_xor_b32_e32 v1, v1, v31
	v_xor_b32_e32 v1, v1, v33
	v_xor_b32_e32 v1, v1, v35
	s_waitcnt vmcnt(3)
	v_xor_b32_e32 v2, v16, v10
	s_waitcnt vmcnt(2)
	v_xor_b32_e32 v2, v2, v20
	;; [unrolled: 2-line block ×4, first 2 shown]
	v_xor_b32_e32 v1, v2, v1
	v_xor_b32_e32 v10, v24, v1
	v_lshlrev_b32_sdwa v12, v0, v10 dst_sel:DWORD dst_unused:UNUSED_PAD src0_sel:DWORD src1_sel:BYTE_2
	v_lshl_add_u64 v[2:3], s[10:11], 0, v[12:13]
	v_bitop3_b32 v1, v24, s2, v1 bitop3:0x48
	v_lshlrev_b32_sdwa v12, v0, v10 dst_sel:DWORD dst_unused:UNUSED_PAD src0_sel:DWORD src1_sel:BYTE_3
	v_add_co_u32_e32 v2, vcc, s3, v2
	v_lshlrev_b32_e32 v1, 3, v1
	s_nop 0
	v_addc_co_u32_e32 v3, vcc, 0, v3, vcc
	v_lshl_add_u64 v[14:15], s[10:11], 0, v[12:13]
	v_lshlrev_b32_sdwa v16, v0, v10 dst_sel:DWORD dst_unused:UNUSED_PAD src0_sel:DWORD src1_sel:BYTE_1
	global_load_dwordx2 v[18:19], v1, s[10:11]
	global_load_dwordx2 v[24:25], v16, s[10:11] offset:2048
	global_load_dwordx2 v[28:29], v[2:3], off
	v_add_co_u32_e32 v2, vcc, s3, v14
	v_xor_b32_e32 v1, v17, v11
	s_nop 0
	v_addc_co_u32_e32 v3, vcc, 0, v15, vcc
	global_load_dwordx2 v[2:3], v[2:3], off offset:2048
	v_xor_b32_e32 v1, v1, v21
	v_xor_b32_e32 v1, v1, v23
	;; [unrolled: 1-line block ×3, first 2 shown]
	v_cmp_lt_u64_e32 vcc, v[8:9], v[6:7]
	s_waitcnt vmcnt(2)
	v_xor_b32_e32 v11, v24, v18
	v_xor_b32_e32 v10, v25, v19
	s_waitcnt vmcnt(1)
	v_xor_b32_e32 v11, v11, v28
	v_xor_b32_e32 v10, v10, v29
	;; [unrolled: 3-line block ×3, first 2 shown]
	v_xor_b32_e32 v16, v2, v1
	s_and_saveexec_b64 s[2:3], vcc
	s_cbranch_execz .LBB0_18
; %bb.15:
	s_mov_b64 s[4:5], 0
.LBB0_16:                               ; =>This Inner Loop Header: Depth=1
	global_load_ubyte v1, v[8:9], off
	v_lshl_add_u64 v[8:9], v[8:9], 0, 1
	v_lshrrev_b64 v[10:11], 8, v[16:17]
	s_waitcnt vmcnt(0)
	v_xor_b32_e32 v1, v1, v16
	v_lshlrev_b32_sdwa v12, v0, v1 dst_sel:DWORD dst_unused:UNUSED_PAD src0_sel:DWORD src1_sel:BYTE_0
	v_lshl_add_u64 v[2:3], s[10:11], 0, v[12:13]
	v_add_co_u32_e32 v2, vcc, 0x1000, v2
	s_nop 1
	v_addc_co_u32_e32 v3, vcc, 0, v3, vcc
	global_load_dwordx2 v[2:3], v[2:3], off offset:2048
	v_cmp_ge_u64_e32 vcc, v[8:9], v[6:7]
	s_or_b64 s[4:5], vcc, s[4:5]
	s_waitcnt vmcnt(0)
	v_xor_b32_e32 v17, v3, v11
	v_xor_b32_e32 v16, v2, v10
	s_andn2_b64 exec, exec, s[4:5]
	s_cbranch_execnz .LBB0_16
; %bb.17:
	s_or_b64 exec, exec, s[4:5]
.LBB0_18:
	s_or_b64 exec, exec, s[2:3]
.LBB0_19:
	s_or_b64 exec, exec, s[0:1]
	v_mov_b32_e32 v0, s6
	v_mov_b32_e32 v1, s7
	v_not_b32_e32 v3, v17
	v_not_b32_e32 v2, v16
	v_lshl_add_u64 v[0:1], v[4:5], 3, v[0:1]
	global_store_dwordx2 v[0:1], v[2:3], off
	s_endpgm
.LBB0_20:
                                        ; implicit-def: $sgpr20_sgpr21
	s_load_dword s0, s[0:1], 0x44
	s_branch .LBB0_2
	.section	.rodata,"a",@progbits
	.p2align	6, 0x0
	.amdhsa_kernel _Z12crc64_kernelPmS_PKhPKmS3_mi
		.amdhsa_group_segment_fixed_size 0
		.amdhsa_private_segment_fixed_size 0
		.amdhsa_kernarg_size 312
		.amdhsa_user_sgpr_count 2
		.amdhsa_user_sgpr_dispatch_ptr 0
		.amdhsa_user_sgpr_queue_ptr 0
		.amdhsa_user_sgpr_kernarg_segment_ptr 1
		.amdhsa_user_sgpr_dispatch_id 0
		.amdhsa_user_sgpr_kernarg_preload_length 0
		.amdhsa_user_sgpr_kernarg_preload_offset 0
		.amdhsa_user_sgpr_private_segment_size 0
		.amdhsa_uses_dynamic_stack 0
		.amdhsa_enable_private_segment 0
		.amdhsa_system_sgpr_workgroup_id_x 1
		.amdhsa_system_sgpr_workgroup_id_y 0
		.amdhsa_system_sgpr_workgroup_id_z 0
		.amdhsa_system_sgpr_workgroup_info 0
		.amdhsa_system_vgpr_workitem_id 0
		.amdhsa_next_free_vgpr 60
		.amdhsa_next_free_sgpr 30
		.amdhsa_accum_offset 60
		.amdhsa_reserve_vcc 1
		.amdhsa_float_round_mode_32 0
		.amdhsa_float_round_mode_16_64 0
		.amdhsa_float_denorm_mode_32 3
		.amdhsa_float_denorm_mode_16_64 3
		.amdhsa_dx10_clamp 1
		.amdhsa_ieee_mode 1
		.amdhsa_fp16_overflow 0
		.amdhsa_tg_split 0
		.amdhsa_exception_fp_ieee_invalid_op 0
		.amdhsa_exception_fp_denorm_src 0
		.amdhsa_exception_fp_ieee_div_zero 0
		.amdhsa_exception_fp_ieee_overflow 0
		.amdhsa_exception_fp_ieee_underflow 0
		.amdhsa_exception_fp_ieee_inexact 0
		.amdhsa_exception_int_div_zero 0
	.end_amdhsa_kernel
	.text
.Lfunc_end0:
	.size	_Z12crc64_kernelPmS_PKhPKmS3_mi, .Lfunc_end0-_Z12crc64_kernelPmS_PKhPKmS3_mi
                                        ; -- End function
	.set _Z12crc64_kernelPmS_PKhPKmS3_mi.num_vgpr, 60
	.set _Z12crc64_kernelPmS_PKhPKmS3_mi.num_agpr, 0
	.set _Z12crc64_kernelPmS_PKhPKmS3_mi.numbered_sgpr, 30
	.set _Z12crc64_kernelPmS_PKhPKmS3_mi.num_named_barrier, 0
	.set _Z12crc64_kernelPmS_PKhPKmS3_mi.private_seg_size, 0
	.set _Z12crc64_kernelPmS_PKhPKmS3_mi.uses_vcc, 1
	.set _Z12crc64_kernelPmS_PKhPKmS3_mi.uses_flat_scratch, 0
	.set _Z12crc64_kernelPmS_PKhPKmS3_mi.has_dyn_sized_stack, 0
	.set _Z12crc64_kernelPmS_PKhPKmS3_mi.has_recursion, 0
	.set _Z12crc64_kernelPmS_PKhPKmS3_mi.has_indirect_call, 0
	.section	.AMDGPU.csdata,"",@progbits
; Kernel info:
; codeLenInByte = 2948
; TotalNumSgprs: 36
; NumVgprs: 60
; NumAgprs: 0
; TotalNumVgprs: 60
; ScratchSize: 0
; MemoryBound: 0
; FloatMode: 240
; IeeeMode: 1
; LDSByteSize: 0 bytes/workgroup (compile time only)
; SGPRBlocks: 4
; VGPRBlocks: 7
; NumSGPRsForWavesPerEU: 36
; NumVGPRsForWavesPerEU: 60
; AccumOffset: 60
; Occupancy: 8
; WaveLimiterHint : 1
; COMPUTE_PGM_RSRC2:SCRATCH_EN: 0
; COMPUTE_PGM_RSRC2:USER_SGPR: 2
; COMPUTE_PGM_RSRC2:TRAP_HANDLER: 0
; COMPUTE_PGM_RSRC2:TGID_X_EN: 1
; COMPUTE_PGM_RSRC2:TGID_Y_EN: 0
; COMPUTE_PGM_RSRC2:TGID_Z_EN: 0
; COMPUTE_PGM_RSRC2:TIDIG_COMP_CNT: 0
; COMPUTE_PGM_RSRC3_GFX90A:ACCUM_OFFSET: 14
; COMPUTE_PGM_RSRC3_GFX90A:TG_SPLIT: 0
	.text
	.p2alignl 6, 3212836864
	.fill 256, 4, 3212836864
	.section	.AMDGPU.gpr_maximums,"",@progbits
	.set amdgpu.max_num_vgpr, 0
	.set amdgpu.max_num_agpr, 0
	.set amdgpu.max_num_sgpr, 0
	.text
	.type	__hip_cuid_6e5c27d74fa6b630,@object ; @__hip_cuid_6e5c27d74fa6b630
	.section	.bss,"aw",@nobits
	.globl	__hip_cuid_6e5c27d74fa6b630
__hip_cuid_6e5c27d74fa6b630:
	.byte	0                               ; 0x0
	.size	__hip_cuid_6e5c27d74fa6b630, 1

	.ident	"AMD clang version 22.0.0git (https://github.com/RadeonOpenCompute/llvm-project roc-7.2.4 26084 f58b06dce1f9c15707c5f808fd002e18c2accf7e)"
	.section	".note.GNU-stack","",@progbits
	.addrsig
	.addrsig_sym __hip_cuid_6e5c27d74fa6b630
	.amdgpu_metadata
---
amdhsa.kernels:
  - .agpr_count:     0
    .args:
      - .address_space:  global
        .offset:         0
        .size:           8
        .value_kind:     global_buffer
      - .address_space:  global
        .offset:         8
        .size:           8
        .value_kind:     global_buffer
      - .address_space:  global
        .offset:         16
        .size:           8
        .value_kind:     global_buffer
      - .address_space:  global
        .offset:         24
        .size:           8
        .value_kind:     global_buffer
      - .address_space:  global
        .offset:         32
        .size:           8
        .value_kind:     global_buffer
      - .offset:         40
        .size:           8
        .value_kind:     by_value
      - .offset:         48
        .size:           4
        .value_kind:     by_value
      - .offset:         56
        .size:           4
        .value_kind:     hidden_block_count_x
      - .offset:         60
        .size:           4
        .value_kind:     hidden_block_count_y
      - .offset:         64
        .size:           4
        .value_kind:     hidden_block_count_z
      - .offset:         68
        .size:           2
        .value_kind:     hidden_group_size_x
      - .offset:         70
        .size:           2
        .value_kind:     hidden_group_size_y
      - .offset:         72
        .size:           2
        .value_kind:     hidden_group_size_z
      - .offset:         74
        .size:           2
        .value_kind:     hidden_remainder_x
      - .offset:         76
        .size:           2
        .value_kind:     hidden_remainder_y
      - .offset:         78
        .size:           2
        .value_kind:     hidden_remainder_z
      - .offset:         96
        .size:           8
        .value_kind:     hidden_global_offset_x
      - .offset:         104
        .size:           8
        .value_kind:     hidden_global_offset_y
      - .offset:         112
        .size:           8
        .value_kind:     hidden_global_offset_z
      - .offset:         120
        .size:           2
        .value_kind:     hidden_grid_dims
    .group_segment_fixed_size: 0
    .kernarg_segment_align: 8
    .kernarg_segment_size: 312
    .language:       OpenCL C
    .language_version:
      - 2
      - 0
    .max_flat_workgroup_size: 1024
    .name:           _Z12crc64_kernelPmS_PKhPKmS3_mi
    .private_segment_fixed_size: 0
    .sgpr_count:     36
    .sgpr_spill_count: 0
    .symbol:         _Z12crc64_kernelPmS_PKhPKmS3_mi.kd
    .uniform_work_group_size: 1
    .uses_dynamic_stack: false
    .vgpr_count:     60
    .vgpr_spill_count: 0
    .wavefront_size: 64
amdhsa.target:   amdgcn-amd-amdhsa--gfx950
amdhsa.version:
  - 1
  - 2
...

	.end_amdgpu_metadata
